;; amdgpu-corpus repo=ROCm/rocFFT kind=compiled arch=gfx906 opt=O3
	.text
	.amdgcn_target "amdgcn-amd-amdhsa--gfx906"
	.amdhsa_code_object_version 6
	.protected	bluestein_single_back_len42_dim1_dp_op_CI_CI ; -- Begin function bluestein_single_back_len42_dim1_dp_op_CI_CI
	.globl	bluestein_single_back_len42_dim1_dp_op_CI_CI
	.p2align	8
	.type	bluestein_single_back_len42_dim1_dp_op_CI_CI,@function
bluestein_single_back_len42_dim1_dp_op_CI_CI: ; @bluestein_single_back_len42_dim1_dp_op_CI_CI
; %bb.0:
	v_mul_u32_u24_e32 v1, 0x2493, v0
	s_load_dwordx4 s[0:3], s[4:5], 0x28
	v_lshrrev_b32_e32 v1, 16, v1
	v_mad_u64_u32 v[48:49], s[6:7], s6, 36, v[1:2]
	v_mov_b32_e32 v49, 0
	s_waitcnt lgkmcnt(0)
	v_cmp_gt_u64_e32 vcc, s[0:1], v[48:49]
	s_and_saveexec_b64 s[0:1], vcc
	s_cbranch_execz .LBB0_15
; %bb.1:
	s_mov_b32 s0, 0x38e38e39
	v_mul_hi_u32 v2, v48, s0
	s_load_dwordx2 s[12:13], s[4:5], 0x0
	s_load_dwordx2 s[6:7], s[4:5], 0x38
	v_mul_lo_u16_e32 v1, 7, v1
	v_sub_u16_e32 v57, v0, v1
	v_lshrrev_b32_e32 v2, 3, v2
	v_mul_lo_u32 v2, v2, 36
	v_cmp_gt_u16_e32 vcc, 6, v57
	v_lshlrev_b32_e32 v59, 4, v57
	v_or_b32_e32 v58, 24, v57
	v_sub_u32_e32 v0, v48, v2
	v_mul_u32_u24_e32 v62, 42, v0
	v_lshlrev_b32_e32 v60, 4, v62
	s_and_saveexec_b64 s[14:15], vcc
	s_cbranch_execz .LBB0_3
; %bb.2:
	s_load_dwordx2 s[0:1], s[4:5], 0x18
	v_lshl_add_u32 v61, v57, 4, v60
	s_waitcnt lgkmcnt(0)
	s_load_dwordx4 s[8:11], s[0:1], 0x0
	s_waitcnt lgkmcnt(0)
	v_mad_u64_u32 v[0:1], s[0:1], s10, v48, 0
	v_mad_u64_u32 v[2:3], s[0:1], s8, v57, 0
	;; [unrolled: 1-line block ×4, first 2 shown]
	v_mov_b32_e32 v1, v4
	v_lshlrev_b64 v[0:1], 4, v[0:1]
	v_mov_b32_e32 v3, v5
	v_mov_b32_e32 v6, s3
	v_lshlrev_b64 v[2:3], 4, v[2:3]
	v_add_co_u32_e64 v30, s[0:1], s2, v0
	v_addc_co_u32_e64 v31, s[0:1], v6, v1, s[0:1]
	v_add_co_u32_e64 v16, s[0:1], v30, v2
	v_addc_co_u32_e64 v17, s[0:1], v31, v3, s[0:1]
	s_mul_i32 s0, s9, 0x60
	s_mul_hi_u32 s2, s8, 0x60
	s_add_i32 s2, s2, s0
	s_mul_i32 s3, s8, 0x60
	v_mov_b32_e32 v0, s2
	v_add_co_u32_e64 v18, s[0:1], s3, v16
	v_addc_co_u32_e64 v19, s[0:1], v17, v0, s[0:1]
	v_mad_u64_u32 v[24:25], s[0:1], s8, v58, 0
	global_load_dwordx4 v[0:3], v[16:17], off
	global_load_dwordx4 v[4:7], v[18:19], off
	global_load_dwordx4 v[8:11], v59, s[12:13]
	global_load_dwordx4 v[12:15], v59, s[12:13] offset:96
	v_mov_b32_e32 v16, s2
	v_add_co_u32_e64 v26, s[0:1], s3, v18
	v_addc_co_u32_e64 v27, s[0:1], v19, v16, s[0:1]
	v_mov_b32_e32 v17, s2
	v_mov_b32_e32 v16, v25
	v_mad_u64_u32 v[28:29], s[0:1], s9, v58, v[16:17]
	v_add_co_u32_e64 v32, s[0:1], s3, v26
	v_mov_b32_e32 v25, v28
	v_lshlrev_b64 v[24:25], 4, v[24:25]
	v_addc_co_u32_e64 v33, s[0:1], v27, v17, s[0:1]
	v_add_co_u32_e64 v34, s[0:1], v30, v24
	v_addc_co_u32_e64 v35, s[0:1], v31, v25, s[0:1]
	global_load_dwordx4 v[16:19], v[26:27], off
	global_load_dwordx4 v[20:23], v[32:33], off
	s_nop 0
	global_load_dwordx4 v[24:27], v[34:35], off
	global_load_dwordx4 v[28:31], v59, s[12:13] offset:384
	v_mov_b32_e32 v34, 0xc0
	v_mad_u64_u32 v[49:50], s[0:1], s8, v34, v[32:33]
	global_load_dwordx4 v[32:35], v59, s[12:13] offset:192
	global_load_dwordx4 v[36:39], v59, s[12:13] offset:288
	s_mul_i32 s0, s9, 0xc0
	v_add_u32_e32 v50, s0, v50
	global_load_dwordx4 v[40:43], v[49:50], off
	global_load_dwordx4 v[44:47], v59, s[12:13] offset:480
	v_mov_b32_e32 v51, s2
	v_add_co_u32_e64 v63, s[0:1], s3, v49
	v_addc_co_u32_e64 v64, s[0:1], v50, v51, s[0:1]
	global_load_dwordx4 v[49:52], v59, s[12:13] offset:576
	global_load_dwordx4 v[53:56], v[63:64], off
	s_waitcnt vmcnt(11)
	v_mul_f64 v[63:64], v[2:3], v[10:11]
	v_mul_f64 v[10:11], v[0:1], v[10:11]
	s_waitcnt vmcnt(10)
	v_mul_f64 v[67:68], v[6:7], v[14:15]
	v_mul_f64 v[14:15], v[4:5], v[14:15]
	v_fma_f64 v[0:1], v[0:1], v[8:9], v[63:64]
	v_fma_f64 v[2:3], v[2:3], v[8:9], -v[10:11]
	v_fma_f64 v[4:5], v[4:5], v[12:13], v[67:68]
	v_fma_f64 v[6:7], v[6:7], v[12:13], -v[14:15]
	ds_write_b128 v61, v[0:3]
	v_add_u32_e32 v0, v60, v59
	s_waitcnt vmcnt(6)
	v_mul_f64 v[65:66], v[26:27], v[30:31]
	v_mul_f64 v[30:31], v[24:25], v[30:31]
	s_waitcnt vmcnt(5)
	v_mul_f64 v[69:70], v[18:19], v[34:35]
	v_mul_f64 v[34:35], v[16:17], v[34:35]
	;; [unrolled: 3-line block ×3, first 2 shown]
	v_fma_f64 v[8:9], v[24:25], v[28:29], v[65:66]
	v_fma_f64 v[10:11], v[26:27], v[28:29], -v[30:31]
	s_waitcnt vmcnt(2)
	v_mul_f64 v[24:25], v[42:43], v[46:47]
	v_mul_f64 v[26:27], v[40:41], v[46:47]
	v_fma_f64 v[12:13], v[16:17], v[32:33], v[69:70]
	s_waitcnt vmcnt(0)
	v_mul_f64 v[28:29], v[55:56], v[51:52]
	v_mul_f64 v[30:31], v[53:54], v[51:52]
	v_fma_f64 v[14:15], v[18:19], v[32:33], -v[34:35]
	v_fma_f64 v[16:17], v[20:21], v[36:37], v[71:72]
	v_fma_f64 v[18:19], v[22:23], v[36:37], -v[38:39]
	v_fma_f64 v[20:21], v[40:41], v[44:45], v[24:25]
	;; [unrolled: 2-line block ×3, first 2 shown]
	v_fma_f64 v[26:27], v[55:56], v[49:50], -v[30:31]
	ds_write_b128 v0, v[4:7] offset:96
	ds_write_b128 v0, v[12:15] offset:192
	;; [unrolled: 1-line block ×6, first 2 shown]
.LBB0_3:
	s_or_b64 exec, exec, s[14:15]
	s_load_dwordx2 s[0:1], s[4:5], 0x20
	s_load_dwordx2 s[8:9], s[4:5], 0x8
	s_waitcnt lgkmcnt(0)
	s_barrier
	s_waitcnt lgkmcnt(0)
                                        ; implicit-def: $vgpr0_vgpr1
                                        ; implicit-def: $vgpr4_vgpr5
                                        ; implicit-def: $vgpr8_vgpr9
                                        ; implicit-def: $vgpr12_vgpr13
                                        ; implicit-def: $vgpr16_vgpr17
                                        ; implicit-def: $vgpr20_vgpr21
                                        ; implicit-def: $vgpr24_vgpr25
	s_and_saveexec_b64 s[2:3], vcc
	s_cbranch_execz .LBB0_5
; %bb.4:
	v_lshl_add_u32 v24, v62, 4, v59
	ds_read_b128 v[0:3], v24
	ds_read_b128 v[4:7], v24 offset:96
	ds_read_b128 v[8:11], v24 offset:192
	;; [unrolled: 1-line block ×6, first 2 shown]
.LBB0_5:
	s_or_b64 exec, exec, s[2:3]
	s_waitcnt lgkmcnt(0)
	v_add_f64 v[28:29], v[4:5], v[24:25]
	v_add_f64 v[30:31], v[6:7], v[26:27]
	v_add_f64 v[32:33], v[4:5], -v[24:25]
	v_add_f64 v[4:5], v[6:7], -v[26:27]
	v_add_f64 v[6:7], v[8:9], v[20:21]
	v_add_f64 v[24:25], v[10:11], v[22:23]
	;; [unrolled: 1-line block ×4, first 2 shown]
	v_add_f64 v[26:27], v[8:9], -v[20:21]
	v_add_f64 v[8:9], v[10:11], -v[22:23]
	;; [unrolled: 1-line block ×4, first 2 shown]
	v_add_f64 v[14:15], v[6:7], v[28:29]
	v_add_f64 v[16:17], v[24:25], v[30:31]
	v_add_f64 v[18:19], v[28:29], -v[34:35]
	v_add_f64 v[20:21], v[30:31], -v[36:37]
	;; [unrolled: 1-line block ×3, first 2 shown]
	s_mov_b32 s2, 0x37e14327
	s_mov_b32 s3, 0x3fe948f6
	v_add_f64 v[38:39], v[12:13], v[8:9]
	v_add_f64 v[14:15], v[34:35], v[14:15]
	;; [unrolled: 1-line block ×3, first 2 shown]
	v_add_f64 v[49:50], v[12:13], -v[8:9]
	v_add_f64 v[36:37], v[32:33], -v[10:11]
	;; [unrolled: 1-line block ×4, first 2 shown]
	v_add_f64 v[22:23], v[10:11], v[26:27]
	v_add_f64 v[46:47], v[10:11], -v[26:27]
	v_add_f64 v[10:11], v[38:39], v[4:5]
	v_mul_f64 v[34:35], v[18:19], s[2:3]
	v_mul_f64 v[38:39], v[20:21], s[2:3]
	s_mov_b32 s2, 0xb247c609
	s_mov_b32 s3, 0x3fd5d0dc
	v_add_f64 v[0:1], v[0:1], v[14:15]
	v_add_f64 v[2:3], v[2:3], v[16:17]
	v_mul_f64 v[53:54], v[36:37], s[2:3]
	v_mul_f64 v[51:52], v[12:13], s[2:3]
	s_mov_b32 s10, 0x36b3c0b5
	s_mov_b32 s14, 0xe976ee23
	;; [unrolled: 1-line block ×6, first 2 shown]
	v_add_f64 v[55:56], v[22:23], v[32:33]
	v_fma_f64 v[36:37], v[14:15], s[2:3], v[0:1]
	v_fma_f64 v[40:41], v[16:17], s[2:3], v[2:3]
	;; [unrolled: 1-line block ×6, first 2 shown]
	s_mov_b32 s4, 0x37c3f68c
	s_mov_b32 s5, 0x3fdc38aa
	v_mul_lo_u16_e32 v61, 7, v57
	v_add_f64 v[12:13], v[12:13], v[36:37]
	v_add_f64 v[16:17], v[14:15], v[40:41]
	v_fma_f64 v[14:15], v[10:11], s[4:5], v[18:19]
	v_fma_f64 v[18:19], v[55:56], s[4:5], v[20:21]
	s_barrier
	v_add_f64 v[20:21], v[12:13], -v[14:15]
	v_add_f64 v[22:23], v[18:19], v[16:17]
	s_and_saveexec_b64 s[2:3], vcc
	s_cbranch_execz .LBB0_7
; %bb.6:
	v_add_f64 v[26:27], v[26:27], -v[32:33]
	v_add_f64 v[24:25], v[24:25], -v[30:31]
	;; [unrolled: 1-line block ×4, first 2 shown]
	v_mul_f64 v[42:43], v[42:43], s[10:11]
	v_mul_f64 v[44:45], v[44:45], s[10:11]
	;; [unrolled: 1-line block ×4, first 2 shown]
	s_mov_b32 s11, 0xbfebfeb5
	s_mov_b32 s10, 0x429ad128
	;; [unrolled: 1-line block ×4, first 2 shown]
	v_mul_f64 v[55:56], v[55:56], s[4:5]
	v_fma_f64 v[8:9], v[26:27], s[10:11], -v[53:54]
	v_fma_f64 v[28:29], v[24:25], s[14:15], -v[38:39]
	;; [unrolled: 1-line block ×4, first 2 shown]
	s_mov_b32 s15, 0x3fe77f67
	s_mov_b32 s11, 0x3febfeb5
	v_mul_f64 v[10:11], v[10:11], s[4:5]
	v_fma_f64 v[24:25], v[24:25], s[14:15], -v[44:45]
	v_fma_f64 v[26:27], v[26:27], s[10:11], -v[32:33]
	;; [unrolled: 1-line block ×4, first 2 shown]
	v_add_f64 v[8:9], v[55:56], v[8:9]
	v_add_f64 v[28:29], v[28:29], v[40:41]
	v_add_f64 v[32:33], v[30:31], v[36:37]
	v_add_f64 v[34:35], v[10:11], v[34:35]
	v_add_f64 v[24:25], v[24:25], v[40:41]
	v_add_f64 v[26:27], v[55:56], v[26:27]
	v_add_f64 v[36:37], v[6:7], v[36:37]
	v_add_f64 v[4:5], v[10:11], v[4:5]
	v_add_f64 v[16:17], v[16:17], -v[18:19]
	v_add_f64 v[14:15], v[12:13], v[14:15]
	v_add_f64 v[6:7], v[8:9], v[28:29]
	v_add_f64 v[30:31], v[28:29], -v[8:9]
	v_add_f64 v[28:29], v[32:33], v[34:35]
	v_add_f64 v[10:11], v[24:25], -v[26:27]
	;; [unrolled: 2-line block ×4, first 2 shown]
	v_add_lshl_u32 v12, v62, v61, 4
	ds_write_b128 v12, v[0:3]
	ds_write_b128 v12, v[14:17] offset:16
	ds_write_b128 v12, v[28:31] offset:32
	;; [unrolled: 1-line block ×6, first 2 shown]
.LBB0_7:
	s_or_b64 exec, exec, s[2:3]
	v_mov_b32_e32 v0, s8
	s_movk_i32 s4, 0x50
	v_mov_b32_e32 v1, s9
	v_mad_u64_u32 v[24:25], s[4:5], v57, s4, v[0:1]
	s_load_dwordx4 s[0:3], s[0:1], 0x0
	s_waitcnt lgkmcnt(0)
	s_barrier
	global_load_dwordx4 v[0:3], v[24:25], off
	global_load_dwordx4 v[8:11], v[24:25], off offset:16
	global_load_dwordx4 v[4:7], v[24:25], off offset:32
	;; [unrolled: 1-line block ×4, first 2 shown]
	v_add_lshl_u32 v50, v62, v57, 4
	ds_read_b128 v[24:27], v50
	ds_read_b128 v[28:31], v50 offset:112
	ds_read_b128 v[32:35], v50 offset:224
	;; [unrolled: 1-line block ×5, first 2 shown]
	s_mov_b32 s4, 0xe8584caa
	s_mov_b32 s5, 0x3febb67a
	s_mov_b32 s9, 0xbfebb67a
	s_mov_b32 s8, s4
	v_lshl_add_u32 v49, v57, 4, v60
	s_waitcnt vmcnt(4) lgkmcnt(4)
	v_mul_f64 v[51:52], v[30:31], v[2:3]
	v_mul_f64 v[53:54], v[28:29], v[2:3]
	s_waitcnt vmcnt(2) lgkmcnt(2)
	v_mul_f64 v[62:63], v[38:39], v[6:7]
	v_mul_f64 v[64:65], v[36:37], v[6:7]
	;; [unrolled: 3-line block ×3, first 2 shown]
	v_mul_f64 v[55:56], v[34:35], v[10:11]
	v_mul_f64 v[70:71], v[32:33], v[10:11]
	s_waitcnt vmcnt(0)
	v_mul_f64 v[72:73], v[42:43], v[18:19]
	v_mul_f64 v[74:75], v[40:41], v[18:19]
	v_fma_f64 v[36:37], v[36:37], v[4:5], -v[62:63]
	v_fma_f64 v[38:39], v[38:39], v[4:5], v[64:65]
	v_fma_f64 v[46:47], v[46:47], v[12:13], v[66:67]
	v_fma_f64 v[44:45], v[44:45], v[12:13], -v[68:69]
	v_fma_f64 v[32:33], v[32:33], v[8:9], -v[55:56]
	;; [unrolled: 1-line block ×3, first 2 shown]
	v_fma_f64 v[30:31], v[30:31], v[0:1], v[53:54]
	v_fma_f64 v[34:35], v[34:35], v[8:9], v[70:71]
	v_fma_f64 v[40:41], v[40:41], v[16:17], -v[72:73]
	v_fma_f64 v[42:43], v[42:43], v[16:17], v[74:75]
	v_add_f64 v[51:52], v[38:39], v[46:47]
	v_add_f64 v[53:54], v[36:37], v[44:45]
	;; [unrolled: 1-line block ×3, first 2 shown]
	v_add_f64 v[68:69], v[38:39], -v[46:47]
	v_add_f64 v[70:71], v[36:37], -v[44:45]
	v_add_f64 v[66:67], v[26:27], v[34:35]
	v_add_f64 v[62:63], v[32:33], v[40:41]
	v_add_f64 v[64:65], v[34:35], -v[42:43]
	v_fma_f64 v[51:52], v[51:52], -0.5, v[30:31]
	v_fma_f64 v[53:54], v[53:54], -0.5, v[28:29]
	v_add_f64 v[34:35], v[34:35], v[42:43]
	v_add_f64 v[32:33], v[32:33], -v[40:41]
	v_add_f64 v[28:29], v[28:29], v[36:37]
	v_add_f64 v[30:31], v[30:31], v[38:39]
	;; [unrolled: 1-line block ×3, first 2 shown]
	v_fma_f64 v[24:25], v[62:63], -0.5, v[24:25]
	v_fma_f64 v[38:39], v[70:71], s[8:9], v[51:52]
	v_fma_f64 v[40:41], v[68:69], s[8:9], v[53:54]
	;; [unrolled: 1-line block ×4, first 2 shown]
	v_fma_f64 v[26:27], v[34:35], -0.5, v[26:27]
	v_add_f64 v[28:29], v[28:29], v[44:45]
	v_add_f64 v[30:31], v[30:31], v[46:47]
	;; [unrolled: 1-line block ×3, first 2 shown]
	v_mul_f64 v[34:35], v[38:39], s[4:5]
	v_mul_f64 v[44:45], v[40:41], -0.5
	v_mul_f64 v[46:47], v[53:54], s[8:9]
	v_mul_f64 v[55:56], v[51:52], -0.5
	v_fma_f64 v[62:63], v[64:65], s[4:5], v[24:25]
	v_fma_f64 v[64:65], v[64:65], s[8:9], v[24:25]
	;; [unrolled: 1-line block ×4, first 2 shown]
	v_fma_f64 v[53:54], v[53:54], 0.5, v[34:35]
	v_fma_f64 v[44:45], v[51:52], s[4:5], v[44:45]
	v_fma_f64 v[46:47], v[38:39], 0.5, v[46:47]
	v_fma_f64 v[51:52], v[40:41], s[8:9], v[55:56]
	v_add_f64 v[24:25], v[36:37], v[28:29]
	v_add_f64 v[26:27], v[42:43], v[30:31]
	v_add_f64 v[36:37], v[36:37], -v[28:29]
	v_add_f64 v[38:39], v[42:43], -v[30:31]
	v_add_f64 v[28:29], v[62:63], v[53:54]
	v_add_f64 v[32:33], v[64:65], v[44:45]
	;; [unrolled: 1-line block ×4, first 2 shown]
	v_add_f64 v[40:41], v[62:63], -v[53:54]
	v_add_f64 v[44:45], v[64:65], -v[44:45]
	;; [unrolled: 1-line block ×4, first 2 shown]
	ds_write_b128 v49, v[24:27]
	ds_write_b128 v49, v[36:39] offset:336
	ds_write_b128 v49, v[28:31] offset:112
	;; [unrolled: 1-line block ×5, first 2 shown]
	s_waitcnt lgkmcnt(0)
	s_barrier
	s_and_saveexec_b64 s[4:5], vcc
	s_cbranch_execz .LBB0_9
; %bb.8:
	global_load_dwordx4 v[51:54], v59, s[12:13] offset:672
	s_add_u32 s8, s12, 0x2a0
	s_addc_u32 s9, s13, 0
	global_load_dwordx4 v[62:65], v59, s[8:9] offset:96
	global_load_dwordx4 v[66:69], v59, s[8:9] offset:192
	;; [unrolled: 1-line block ×6, first 2 shown]
	ds_read_b128 v[86:89], v49
	ds_read_b128 v[90:93], v49 offset:96
	ds_read_b128 v[94:97], v49 offset:192
	;; [unrolled: 1-line block ×6, first 2 shown]
	s_waitcnt vmcnt(5) lgkmcnt(5)
	v_mul_f64 v[116:117], v[92:93], v[64:65]
	v_mul_f64 v[64:65], v[90:91], v[64:65]
	;; [unrolled: 1-line block ×4, first 2 shown]
	s_waitcnt vmcnt(4) lgkmcnt(4)
	v_mul_f64 v[118:119], v[96:97], v[68:69]
	v_mul_f64 v[68:69], v[94:95], v[68:69]
	s_waitcnt vmcnt(3) lgkmcnt(3)
	v_mul_f64 v[120:121], v[100:101], v[72:73]
	v_mul_f64 v[72:73], v[98:99], v[72:73]
	;; [unrolled: 3-line block ×5, first 2 shown]
	v_fma_f64 v[53:54], v[86:87], v[51:52], -v[55:56]
	v_fma_f64 v[55:56], v[88:89], v[51:52], v[114:115]
	v_fma_f64 v[84:85], v[90:91], v[62:63], -v[116:117]
	v_fma_f64 v[86:87], v[92:93], v[62:63], v[64:65]
	;; [unrolled: 2-line block ×7, first 2 shown]
	ds_write_b128 v49, v[53:56]
	ds_write_b128 v49, v[84:87] offset:96
	ds_write_b128 v49, v[62:65] offset:192
	;; [unrolled: 1-line block ×6, first 2 shown]
.LBB0_9:
	s_or_b64 exec, exec, s[4:5]
	s_waitcnt lgkmcnt(0)
	s_barrier
	s_and_saveexec_b64 s[4:5], vcc
	s_cbranch_execz .LBB0_11
; %bb.10:
	ds_read_b128 v[24:27], v49
	ds_read_b128 v[28:31], v49 offset:96
	ds_read_b128 v[32:35], v49 offset:192
	;; [unrolled: 1-line block ×6, first 2 shown]
.LBB0_11:
	s_or_b64 exec, exec, s[4:5]
	s_waitcnt lgkmcnt(0)
	s_barrier
	s_and_saveexec_b64 s[4:5], vcc
	s_cbranch_execz .LBB0_13
; %bb.12:
	v_add_f64 v[51:52], v[30:31], v[22:23]
	v_add_f64 v[53:54], v[34:35], v[46:47]
	v_add_f64 v[62:63], v[40:41], -v[36:37]
	v_add_f64 v[64:65], v[32:33], -v[44:45]
	v_add_f64 v[66:67], v[38:39], v[42:43]
	v_add_f64 v[55:56], v[28:29], -v[20:21]
	v_add_f64 v[20:21], v[28:29], v[20:21]
	v_add_f64 v[28:29], v[32:33], v[44:45]
	s_mov_b32 s10, 0xe976ee23
	v_add_f64 v[68:69], v[53:54], v[51:52]
	s_mov_b32 s16, 0x37e14327
	v_add_f64 v[70:71], v[62:63], -v[64:65]
	v_add_f64 v[32:33], v[51:52], -v[66:67]
	s_mov_b32 s11, 0x3fe11646
	s_mov_b32 s17, 0x3fe948f6
	v_add_f64 v[36:37], v[36:37], v[40:41]
	v_add_f64 v[40:41], v[55:56], -v[62:63]
	v_add_f64 v[68:69], v[66:67], v[68:69]
	v_add_f64 v[44:45], v[62:63], v[64:65]
	v_mul_f64 v[62:63], v[70:71], s[10:11]
	v_add_f64 v[66:67], v[66:67], -v[53:54]
	v_add_f64 v[70:71], v[28:29], v[20:21]
	v_mul_f64 v[32:33], v[32:33], s[16:17]
	v_add_f64 v[38:39], v[42:43], -v[38:39]
	v_add_f64 v[34:35], v[34:35], -v[46:47]
	v_add_f64 v[26:27], v[26:27], v[68:69]
	s_mov_b32 s14, 0xaaaaaaaa
	s_mov_b32 s18, 0x36b3c0b5
	;; [unrolled: 1-line block ×4, first 2 shown]
	v_fma_f64 v[42:43], v[66:67], s[18:19], v[32:33]
	v_add_f64 v[46:47], v[36:37], v[70:71]
	v_add_f64 v[70:71], v[20:21], -v[36:37]
	v_fma_f64 v[68:69], v[68:69], s[14:15], v[26:27]
	v_add_f64 v[30:31], v[30:31], -v[22:23]
	v_add_f64 v[22:23], v[38:39], -v[34:35]
	v_add_f64 v[44:45], v[44:45], v[55:56]
	v_add_f64 v[55:56], v[64:65], -v[55:56]
	v_add_f64 v[51:52], v[53:54], -v[51:52]
	;; [unrolled: 1-line block ×3, first 2 shown]
	v_add_f64 v[24:25], v[24:25], v[46:47]
	v_add_f64 v[74:75], v[42:43], v[68:69]
	v_mul_f64 v[42:43], v[66:67], s[18:19]
	v_mul_f64 v[66:67], v[70:71], s[16:17]
	;; [unrolled: 1-line block ×3, first 2 shown]
	s_mov_b32 s10, 0x429ad128
	v_add_f64 v[64:65], v[30:31], -v[38:39]
	s_mov_b32 s11, 0xbfebfeb5
	v_add_f64 v[53:54], v[34:35], -v[30:31]
	v_mul_f64 v[78:79], v[55:56], s[10:11]
	v_add_f64 v[20:21], v[28:29], -v[20:21]
	s_mov_b32 s9, 0xbfd5d0dc
	s_mov_b32 s8, 0xb247c609
	v_add_f64 v[28:29], v[38:39], v[34:35]
	v_fma_f64 v[72:73], v[40:41], s[8:9], v[62:63]
	v_fma_f64 v[80:81], v[64:65], s[8:9], v[70:71]
	s_mov_b32 s9, 0x3fd5d0dc
	v_mul_f64 v[38:39], v[53:54], s[10:11]
	v_mul_f64 v[76:77], v[36:37], s[18:19]
	v_fma_f64 v[34:35], v[40:41], s[8:9], -v[78:79]
	v_fma_f64 v[46:47], v[46:47], s[14:15], v[24:25]
	s_mov_b32 s15, 0xbfe77f67
	s_mov_b32 s14, 0x5476071b
	v_fma_f64 v[32:33], v[51:52], s[14:15], -v[32:33]
	v_fma_f64 v[40:41], v[20:21], s[14:15], -v[66:67]
	s_mov_b32 s15, 0x3fe77f67
	s_mov_b32 s20, 0x37c3f68c
	v_fma_f64 v[36:37], v[36:37], s[18:19], v[66:67]
	v_fma_f64 v[42:43], v[51:52], s[14:15], -v[42:43]
	v_fma_f64 v[51:52], v[55:56], s[10:11], -v[62:63]
	v_add_f64 v[28:29], v[28:29], v[30:31]
	s_mov_b32 s21, 0xbfdc38aa
	v_fma_f64 v[30:31], v[64:65], s[8:9], -v[38:39]
	v_fma_f64 v[55:56], v[44:45], s[20:21], v[34:35]
	v_fma_f64 v[20:21], v[20:21], s[14:15], -v[76:77]
	v_fma_f64 v[34:35], v[53:54], s[10:11], -v[70:71]
	v_fma_f64 v[72:73], v[44:45], s[20:21], v[72:73]
	v_add_f64 v[38:39], v[42:43], v[68:69]
	v_fma_f64 v[42:43], v[44:45], s[20:21], v[51:52]
	v_add_f64 v[51:52], v[36:37], v[46:47]
	;; [unrolled: 2-line block ×3, first 2 shown]
	v_add_f64 v[62:63], v[40:41], v[46:47]
	v_fma_f64 v[64:65], v[28:29], s[20:21], v[30:31]
	v_add_f64 v[20:21], v[20:21], v[46:47]
	v_fma_f64 v[28:29], v[28:29], s[20:21], v[34:35]
	v_add_f64 v[46:47], v[74:75], -v[72:73]
	v_add_f64 v[34:35], v[38:39], -v[42:43]
	v_add_f64 v[44:45], v[51:52], v[53:54]
	v_add_f64 v[38:39], v[42:43], v[38:39]
	v_add_f64 v[42:43], v[32:33], -v[55:56]
	v_add_f64 v[40:41], v[62:63], v[64:65]
	v_add_f64 v[30:31], v[55:56], v[32:33]
	v_add_f64 v[36:37], v[20:21], -v[28:29]
	v_add_f64 v[32:33], v[20:21], v[28:29]
	v_add_f64 v[28:29], v[62:63], -v[64:65]
	v_add_f64 v[22:23], v[72:73], v[74:75]
	v_add_f64 v[20:21], v[51:52], -v[53:54]
	v_lshl_add_u32 v51, v61, 4, v60
	ds_write_b128 v51, v[24:27]
	ds_write_b128 v51, v[44:47] offset:16
	ds_write_b128 v51, v[40:43] offset:32
	;; [unrolled: 1-line block ×6, first 2 shown]
.LBB0_13:
	s_or_b64 exec, exec, s[4:5]
	s_waitcnt lgkmcnt(0)
	s_barrier
	ds_read_b128 v[20:23], v50 offset:224
	ds_read_b128 v[24:27], v50 offset:448
	;; [unrolled: 1-line block ×4, first 2 shown]
	ds_read_b128 v[36:39], v50
	ds_read_b128 v[40:43], v50 offset:112
	s_waitcnt lgkmcnt(5)
	v_mul_f64 v[44:45], v[10:11], v[22:23]
	s_waitcnt lgkmcnt(4)
	v_mul_f64 v[46:47], v[18:19], v[26:27]
	v_mul_f64 v[10:11], v[10:11], v[20:21]
	s_waitcnt lgkmcnt(3)
	v_mul_f64 v[50:51], v[6:7], v[28:29]
	v_mul_f64 v[18:19], v[18:19], v[24:25]
	;; [unrolled: 1-line block ×3, first 2 shown]
	s_mov_b32 s4, 0xe8584caa
	s_mov_b32 s5, 0xbfebb67a
	v_fma_f64 v[20:21], v[8:9], v[20:21], v[44:45]
	v_fma_f64 v[44:45], v[16:17], v[24:25], v[46:47]
	s_waitcnt lgkmcnt(2)
	v_mul_f64 v[24:25], v[14:15], v[32:33]
	s_waitcnt lgkmcnt(0)
	v_mul_f64 v[46:47], v[2:3], v[40:41]
	v_fma_f64 v[8:9], v[8:9], v[22:23], -v[10:11]
	v_fma_f64 v[10:11], v[4:5], v[30:31], -v[50:51]
	v_mul_f64 v[14:15], v[14:15], v[34:35]
	v_fma_f64 v[16:17], v[16:17], v[26:27], -v[18:19]
	v_mul_f64 v[2:3], v[2:3], v[42:43]
	v_add_f64 v[22:23], v[20:21], v[44:45]
	v_fma_f64 v[18:19], v[12:13], v[34:35], -v[24:25]
	v_fma_f64 v[24:25], v[0:1], v[42:43], -v[46:47]
	v_fma_f64 v[4:5], v[4:5], v[28:29], v[6:7]
	s_mov_b32 s9, 0x3febb67a
	v_fma_f64 v[6:7], v[12:13], v[32:33], v[14:15]
	v_add_f64 v[14:15], v[8:9], -v[16:17]
	v_fma_f64 v[0:1], v[0:1], v[40:41], v[2:3]
	v_fma_f64 v[12:13], v[22:23], -0.5, v[36:37]
	v_add_f64 v[22:23], v[10:11], v[18:19]
	v_add_f64 v[32:33], v[38:39], v[8:9]
	;; [unrolled: 1-line block ×3, first 2 shown]
	s_mov_b32 s8, s4
	v_add_f64 v[2:3], v[4:5], v[6:7]
	v_add_f64 v[30:31], v[4:5], -v[6:7]
	v_add_f64 v[34:35], v[10:11], -v[18:19]
	v_fma_f64 v[28:29], v[14:15], s[4:5], v[12:13]
	v_fma_f64 v[22:23], v[22:23], -0.5, v[24:25]
	v_fma_f64 v[14:15], v[14:15], s[8:9], v[12:13]
	v_add_f64 v[26:27], v[36:37], v[20:21]
	v_fma_f64 v[8:9], v[8:9], -0.5, v[38:39]
	v_fma_f64 v[2:3], v[2:3], -0.5, v[0:1]
	v_add_f64 v[0:1], v[0:1], v[4:5]
	v_add_f64 v[10:11], v[24:25], v[10:11]
	v_fma_f64 v[12:13], v[30:31], s[8:9], v[22:23]
	v_fma_f64 v[22:23], v[30:31], s[4:5], v[22:23]
	v_add_f64 v[30:31], v[32:33], v[16:17]
	v_add_f64 v[16:17], v[20:21], -v[44:45]
	v_fma_f64 v[4:5], v[34:35], s[4:5], v[2:3]
	v_fma_f64 v[2:3], v[34:35], s[8:9], v[2:3]
	v_add_f64 v[26:27], v[26:27], v[44:45]
	v_add_f64 v[18:19], v[10:11], v[18:19]
	v_mul_f64 v[20:21], v[12:13], s[4:5]
	v_mul_f64 v[12:13], v[12:13], 0.5
	v_mul_f64 v[32:33], v[22:23], s[4:5]
	v_mul_f64 v[22:23], v[22:23], -0.5
	v_fma_f64 v[24:25], v[16:17], s[8:9], v[8:9]
	v_fma_f64 v[34:35], v[16:17], s[4:5], v[8:9]
	v_add_f64 v[16:17], v[0:1], v[6:7]
	v_fma_f64 v[20:21], v[4:5], 0.5, v[20:21]
	v_fma_f64 v[36:37], v[4:5], s[8:9], v[12:13]
	v_fma_f64 v[32:33], v[2:3], -0.5, v[32:33]
	v_fma_f64 v[22:23], v[2:3], s[8:9], v[22:23]
	v_add_f64 v[2:3], v[30:31], v[18:19]
	v_add_f64 v[0:1], v[26:27], v[16:17]
	v_add_f64 v[12:13], v[26:27], -v[16:17]
	v_add_f64 v[4:5], v[28:29], v[20:21]
	v_add_f64 v[6:7], v[24:25], v[36:37]
	;; [unrolled: 1-line block ×4, first 2 shown]
	v_add_f64 v[16:17], v[28:29], -v[20:21]
	v_add_f64 v[20:21], v[14:15], -v[32:33]
	;; [unrolled: 1-line block ×5, first 2 shown]
	ds_write_b128 v49, v[0:3]
	ds_write_b128 v49, v[4:7] offset:112
	ds_write_b128 v49, v[8:11] offset:224
	;; [unrolled: 1-line block ×5, first 2 shown]
	s_waitcnt lgkmcnt(0)
	s_barrier
	s_and_b64 exec, exec, vcc
	s_cbranch_execz .LBB0_15
; %bb.14:
	global_load_dwordx4 v[0:3], v59, s[12:13]
	global_load_dwordx4 v[4:7], v59, s[12:13] offset:96
	global_load_dwordx4 v[8:11], v59, s[12:13] offset:192
	;; [unrolled: 1-line block ×6, first 2 shown]
	v_mad_u64_u32 v[54:55], s[4:5], s2, v48, 0
	ds_read_b128 v[28:31], v49
	ds_read_b128 v[32:35], v49 offset:96
	ds_read_b128 v[36:39], v49 offset:192
	;; [unrolled: 1-line block ×6, first 2 shown]
	v_mad_u64_u32 v[63:64], s[8:9], s0, v57, 0
	v_mad_u64_u32 v[65:66], s[8:9], s0, v58, 0
	v_mov_b32_e32 v68, s7
	s_mul_i32 s2, s1, 0x60
	s_mul_hi_u32 s7, s0, 0x60
	v_mov_b32_e32 v49, v55
	s_add_i32 s7, s7, s2
	s_waitcnt lgkmcnt(1)
	v_mad_u64_u32 v[48:49], s[2:3], s3, v48, v[49:50]
	v_mov_b32_e32 v55, v64
	v_mov_b32_e32 v56, v66
	v_mad_u64_u32 v[66:67], s[2:3], s1, v57, v[55:56]
	v_mov_b32_e32 v55, v48
	v_lshlrev_b64 v[48:49], 4, v[54:55]
	v_mov_b32_e32 v64, v66
	v_lshlrev_b64 v[54:55], 4, v[63:64]
	v_add_co_u32_e32 v81, vcc, s6, v48
	v_addc_co_u32_e32 v82, vcc, v68, v49, vcc
	v_add_co_u32_e32 v48, vcc, v81, v54
	s_mul_i32 s10, s0, 0x60
	v_addc_co_u32_e32 v49, vcc, v82, v55, vcc
	v_mov_b32_e32 v69, s7
	v_add_co_u32_e32 v54, vcc, s10, v48
	v_addc_co_u32_e32 v55, vcc, v49, v69, vcc
	v_mov_b32_e32 v70, s7
	v_add_co_u32_e32 v63, vcc, s10, v54
	v_addc_co_u32_e32 v64, vcc, v55, v70, vcc
	s_mov_b32 s4, 0x18618618
	s_mov_b32 s5, 0x3f986186
	v_mad_u64_u32 v[56:57], s[2:3], s1, v58, v[56:57]
	v_mov_b32_e32 v58, s7
	v_mov_b32_e32 v66, v56
	v_lshlrev_b64 v[56:57], 4, v[65:66]
	v_add_co_u32_e32 v65, vcc, s10, v63
	v_addc_co_u32_e32 v66, vcc, v64, v58, vcc
	s_waitcnt vmcnt(6)
	v_mul_f64 v[67:68], v[30:31], v[2:3]
	v_mul_f64 v[2:3], v[28:29], v[2:3]
	s_waitcnt vmcnt(5)
	v_mul_f64 v[69:70], v[34:35], v[6:7]
	v_mul_f64 v[6:7], v[32:33], v[6:7]
	;; [unrolled: 3-line block ×5, first 2 shown]
	v_fma_f64 v[28:29], v[28:29], v[0:1], v[67:68]
	v_fma_f64 v[2:3], v[0:1], v[30:31], -v[2:3]
	v_fma_f64 v[30:31], v[32:33], v[4:5], v[69:70]
	v_fma_f64 v[6:7], v[4:5], v[34:35], -v[6:7]
	;; [unrolled: 2-line block ×4, first 2 shown]
	s_waitcnt vmcnt(1)
	v_mul_f64 v[77:78], v[52:53], v[22:23]
	v_mul_f64 v[22:23], v[50:51], v[22:23]
	v_fma_f64 v[36:37], v[44:45], v[16:17], v[75:76]
	v_fma_f64 v[18:19], v[16:17], v[46:47], -v[18:19]
	s_waitcnt vmcnt(0) lgkmcnt(0)
	v_mul_f64 v[79:80], v[61:62], v[26:27]
	v_mul_f64 v[26:27], v[59:60], v[26:27]
	;; [unrolled: 1-line block ×10, first 2 shown]
	v_fma_f64 v[28:29], v[50:51], v[20:21], v[77:78]
	v_fma_f64 v[20:21], v[20:21], v[52:53], -v[22:23]
	v_mul_f64 v[16:17], v[36:37], s[4:5]
	v_mul_f64 v[18:19], v[18:19], s[4:5]
	global_store_dwordx4 v[48:49], v[0:3], off
	global_store_dwordx4 v[54:55], v[4:7], off
	;; [unrolled: 1-line block ×4, first 2 shown]
	v_fma_f64 v[4:5], v[59:60], v[24:25], v[79:80]
	v_fma_f64 v[6:7], v[24:25], v[61:62], -v[26:27]
	v_add_co_u32_e32 v0, vcc, v81, v56
	v_addc_co_u32_e32 v1, vcc, v82, v57, vcc
	global_store_dwordx4 v[0:1], v[16:19], off
	v_mul_f64 v[0:1], v[28:29], s[4:5]
	v_mul_f64 v[2:3], v[20:21], s[4:5]
	v_mov_b32_e32 v8, 0xc0
	v_mul_f64 v[4:5], v[4:5], s[4:5]
	v_mul_f64 v[6:7], v[6:7], s[4:5]
	v_mad_u64_u32 v[8:9], s[2:3], s0, v8, v[65:66]
	s_mul_i32 s0, s1, 0xc0
	v_add_u32_e32 v9, s0, v9
	global_store_dwordx4 v[8:9], v[0:3], off
	s_nop 0
	v_mov_b32_e32 v1, s7
	v_add_co_u32_e32 v0, vcc, s10, v8
	v_addc_co_u32_e32 v1, vcc, v9, v1, vcc
	global_store_dwordx4 v[0:1], v[4:7], off
.LBB0_15:
	s_endpgm
	.section	.rodata,"a",@progbits
	.p2align	6, 0x0
	.amdhsa_kernel bluestein_single_back_len42_dim1_dp_op_CI_CI
		.amdhsa_group_segment_fixed_size 24192
		.amdhsa_private_segment_fixed_size 0
		.amdhsa_kernarg_size 104
		.amdhsa_user_sgpr_count 6
		.amdhsa_user_sgpr_private_segment_buffer 1
		.amdhsa_user_sgpr_dispatch_ptr 0
		.amdhsa_user_sgpr_queue_ptr 0
		.amdhsa_user_sgpr_kernarg_segment_ptr 1
		.amdhsa_user_sgpr_dispatch_id 0
		.amdhsa_user_sgpr_flat_scratch_init 0
		.amdhsa_user_sgpr_private_segment_size 0
		.amdhsa_uses_dynamic_stack 0
		.amdhsa_system_sgpr_private_segment_wavefront_offset 0
		.amdhsa_system_sgpr_workgroup_id_x 1
		.amdhsa_system_sgpr_workgroup_id_y 0
		.amdhsa_system_sgpr_workgroup_id_z 0
		.amdhsa_system_sgpr_workgroup_info 0
		.amdhsa_system_vgpr_workitem_id 0
		.amdhsa_next_free_vgpr 130
		.amdhsa_next_free_sgpr 22
		.amdhsa_reserve_vcc 1
		.amdhsa_reserve_flat_scratch 0
		.amdhsa_float_round_mode_32 0
		.amdhsa_float_round_mode_16_64 0
		.amdhsa_float_denorm_mode_32 3
		.amdhsa_float_denorm_mode_16_64 3
		.amdhsa_dx10_clamp 1
		.amdhsa_ieee_mode 1
		.amdhsa_fp16_overflow 0
		.amdhsa_exception_fp_ieee_invalid_op 0
		.amdhsa_exception_fp_denorm_src 0
		.amdhsa_exception_fp_ieee_div_zero 0
		.amdhsa_exception_fp_ieee_overflow 0
		.amdhsa_exception_fp_ieee_underflow 0
		.amdhsa_exception_fp_ieee_inexact 0
		.amdhsa_exception_int_div_zero 0
	.end_amdhsa_kernel
	.text
.Lfunc_end0:
	.size	bluestein_single_back_len42_dim1_dp_op_CI_CI, .Lfunc_end0-bluestein_single_back_len42_dim1_dp_op_CI_CI
                                        ; -- End function
	.section	.AMDGPU.csdata,"",@progbits
; Kernel info:
; codeLenInByte = 5532
; NumSgprs: 26
; NumVgprs: 130
; ScratchSize: 0
; MemoryBound: 0
; FloatMode: 240
; IeeeMode: 1
; LDSByteSize: 24192 bytes/workgroup (compile time only)
; SGPRBlocks: 3
; VGPRBlocks: 32
; NumSGPRsForWavesPerEU: 26
; NumVGPRsForWavesPerEU: 130
; Occupancy: 1
; WaveLimiterHint : 1
; COMPUTE_PGM_RSRC2:SCRATCH_EN: 0
; COMPUTE_PGM_RSRC2:USER_SGPR: 6
; COMPUTE_PGM_RSRC2:TRAP_HANDLER: 0
; COMPUTE_PGM_RSRC2:TGID_X_EN: 1
; COMPUTE_PGM_RSRC2:TGID_Y_EN: 0
; COMPUTE_PGM_RSRC2:TGID_Z_EN: 0
; COMPUTE_PGM_RSRC2:TIDIG_COMP_CNT: 0
	.type	__hip_cuid_2cf41413c233f4a1,@object ; @__hip_cuid_2cf41413c233f4a1
	.section	.bss,"aw",@nobits
	.globl	__hip_cuid_2cf41413c233f4a1
__hip_cuid_2cf41413c233f4a1:
	.byte	0                               ; 0x0
	.size	__hip_cuid_2cf41413c233f4a1, 1

	.ident	"AMD clang version 19.0.0git (https://github.com/RadeonOpenCompute/llvm-project roc-6.4.0 25133 c7fe45cf4b819c5991fe208aaa96edf142730f1d)"
	.section	".note.GNU-stack","",@progbits
	.addrsig
	.addrsig_sym __hip_cuid_2cf41413c233f4a1
	.amdgpu_metadata
---
amdhsa.kernels:
  - .args:
      - .actual_access:  read_only
        .address_space:  global
        .offset:         0
        .size:           8
        .value_kind:     global_buffer
      - .actual_access:  read_only
        .address_space:  global
        .offset:         8
        .size:           8
        .value_kind:     global_buffer
      - .actual_access:  read_only
        .address_space:  global
        .offset:         16
        .size:           8
        .value_kind:     global_buffer
      - .actual_access:  read_only
        .address_space:  global
        .offset:         24
        .size:           8
        .value_kind:     global_buffer
      - .actual_access:  read_only
        .address_space:  global
        .offset:         32
        .size:           8
        .value_kind:     global_buffer
      - .offset:         40
        .size:           8
        .value_kind:     by_value
      - .address_space:  global
        .offset:         48
        .size:           8
        .value_kind:     global_buffer
      - .address_space:  global
        .offset:         56
        .size:           8
        .value_kind:     global_buffer
      - .address_space:  global
        .offset:         64
        .size:           8
        .value_kind:     global_buffer
      - .address_space:  global
        .offset:         72
        .size:           8
        .value_kind:     global_buffer
      - .offset:         80
        .size:           4
        .value_kind:     by_value
      - .address_space:  global
        .offset:         88
        .size:           8
        .value_kind:     global_buffer
      - .address_space:  global
        .offset:         96
        .size:           8
        .value_kind:     global_buffer
    .group_segment_fixed_size: 24192
    .kernarg_segment_align: 8
    .kernarg_segment_size: 104
    .language:       OpenCL C
    .language_version:
      - 2
      - 0
    .max_flat_workgroup_size: 252
    .name:           bluestein_single_back_len42_dim1_dp_op_CI_CI
    .private_segment_fixed_size: 0
    .sgpr_count:     26
    .sgpr_spill_count: 0
    .symbol:         bluestein_single_back_len42_dim1_dp_op_CI_CI.kd
    .uniform_work_group_size: 1
    .uses_dynamic_stack: false
    .vgpr_count:     130
    .vgpr_spill_count: 0
    .wavefront_size: 64
amdhsa.target:   amdgcn-amd-amdhsa--gfx906
amdhsa.version:
  - 1
  - 2
...

	.end_amdgpu_metadata
